;; amdgpu-corpus repo=ROCm/rocFFT kind=compiled arch=gfx1201 opt=O3
	.text
	.amdgcn_target "amdgcn-amd-amdhsa--gfx1201"
	.amdhsa_code_object_version 6
	.protected	fft_rtc_fwd_len891_factors_9_11_3_3_wgs_198_tpt_99_halfLds_half_ip_CI_sbrr_dirReg ; -- Begin function fft_rtc_fwd_len891_factors_9_11_3_3_wgs_198_tpt_99_halfLds_half_ip_CI_sbrr_dirReg
	.globl	fft_rtc_fwd_len891_factors_9_11_3_3_wgs_198_tpt_99_halfLds_half_ip_CI_sbrr_dirReg
	.p2align	8
	.type	fft_rtc_fwd_len891_factors_9_11_3_3_wgs_198_tpt_99_halfLds_half_ip_CI_sbrr_dirReg,@function
fft_rtc_fwd_len891_factors_9_11_3_3_wgs_198_tpt_99_halfLds_half_ip_CI_sbrr_dirReg: ; @fft_rtc_fwd_len891_factors_9_11_3_3_wgs_198_tpt_99_halfLds_half_ip_CI_sbrr_dirReg
; %bb.0:
	s_clause 0x2
	s_load_b64 s[12:13], s[0:1], 0x18
	s_load_b128 s[4:7], s[0:1], 0x0
	s_load_b64 s[10:11], s[0:1], 0x50
	v_mul_u32_u24_e32 v1, 0x296, v0
	v_mov_b32_e32 v3, 0
	s_delay_alu instid0(VALU_DEP_2) | instskip(SKIP_2) | instid1(VALU_DEP_4)
	v_lshrrev_b32_e32 v15, 16, v1
	v_mov_b32_e32 v1, 0
	v_mov_b32_e32 v2, 0
	;; [unrolled: 1-line block ×3, first 2 shown]
	s_delay_alu instid0(VALU_DEP_4) | instskip(SKIP_3) | instid1(VALU_DEP_1)
	v_lshl_add_u32 v5, ttmp9, 1, v15
	s_wait_kmcnt 0x0
	s_load_b64 s[8:9], s[12:13], 0x0
	v_cmp_lt_u64_e64 s2, s[6:7], 2
	s_and_b32 vcc_lo, exec_lo, s2
	s_cbranch_vccnz .LBB0_8
; %bb.1:
	s_load_b64 s[2:3], s[0:1], 0x10
	v_mov_b32_e32 v1, 0
	v_mov_b32_e32 v2, 0
	s_add_nc_u64 s[14:15], s[12:13], 8
	s_mov_b64 s[16:17], 1
	s_wait_kmcnt 0x0
	s_add_nc_u64 s[18:19], s[2:3], 8
	s_mov_b32 s3, 0
.LBB0_2:                                ; =>This Inner Loop Header: Depth=1
	s_load_b64 s[20:21], s[18:19], 0x0
                                        ; implicit-def: $vgpr7_vgpr8
	s_mov_b32 s2, exec_lo
	s_wait_kmcnt 0x0
	v_or_b32_e32 v4, s21, v6
	s_delay_alu instid0(VALU_DEP_1)
	v_cmpx_ne_u64_e32 0, v[3:4]
	s_wait_alu 0xfffe
	s_xor_b32 s22, exec_lo, s2
	s_cbranch_execz .LBB0_4
; %bb.3:                                ;   in Loop: Header=BB0_2 Depth=1
	s_cvt_f32_u32 s2, s20
	s_cvt_f32_u32 s23, s21
	s_sub_nc_u64 s[26:27], 0, s[20:21]
	s_wait_alu 0xfffe
	s_delay_alu instid0(SALU_CYCLE_1) | instskip(SKIP_1) | instid1(SALU_CYCLE_2)
	s_fmamk_f32 s2, s23, 0x4f800000, s2
	s_wait_alu 0xfffe
	v_s_rcp_f32 s2, s2
	s_delay_alu instid0(TRANS32_DEP_1) | instskip(SKIP_1) | instid1(SALU_CYCLE_2)
	s_mul_f32 s2, s2, 0x5f7ffffc
	s_wait_alu 0xfffe
	s_mul_f32 s23, s2, 0x2f800000
	s_wait_alu 0xfffe
	s_delay_alu instid0(SALU_CYCLE_2) | instskip(SKIP_1) | instid1(SALU_CYCLE_2)
	s_trunc_f32 s23, s23
	s_wait_alu 0xfffe
	s_fmamk_f32 s2, s23, 0xcf800000, s2
	s_cvt_u32_f32 s25, s23
	s_wait_alu 0xfffe
	s_delay_alu instid0(SALU_CYCLE_1) | instskip(SKIP_1) | instid1(SALU_CYCLE_2)
	s_cvt_u32_f32 s24, s2
	s_wait_alu 0xfffe
	s_mul_u64 s[28:29], s[26:27], s[24:25]
	s_wait_alu 0xfffe
	s_mul_hi_u32 s31, s24, s29
	s_mul_i32 s30, s24, s29
	s_mul_hi_u32 s2, s24, s28
	s_mul_i32 s33, s25, s28
	s_wait_alu 0xfffe
	s_add_nc_u64 s[30:31], s[2:3], s[30:31]
	s_mul_hi_u32 s23, s25, s28
	s_mul_hi_u32 s34, s25, s29
	s_add_co_u32 s2, s30, s33
	s_wait_alu 0xfffe
	s_add_co_ci_u32 s2, s31, s23
	s_mul_i32 s28, s25, s29
	s_add_co_ci_u32 s29, s34, 0
	s_wait_alu 0xfffe
	s_add_nc_u64 s[28:29], s[2:3], s[28:29]
	s_wait_alu 0xfffe
	v_add_co_u32 v4, s2, s24, s28
	s_delay_alu instid0(VALU_DEP_1) | instskip(SKIP_1) | instid1(VALU_DEP_1)
	s_cmp_lg_u32 s2, 0
	s_add_co_ci_u32 s25, s25, s29
	v_readfirstlane_b32 s24, v4
	s_wait_alu 0xfffe
	s_delay_alu instid0(VALU_DEP_1)
	s_mul_u64 s[26:27], s[26:27], s[24:25]
	s_wait_alu 0xfffe
	s_mul_hi_u32 s29, s24, s27
	s_mul_i32 s28, s24, s27
	s_mul_hi_u32 s2, s24, s26
	s_mul_i32 s30, s25, s26
	s_wait_alu 0xfffe
	s_add_nc_u64 s[28:29], s[2:3], s[28:29]
	s_mul_hi_u32 s23, s25, s26
	s_mul_hi_u32 s24, s25, s27
	s_wait_alu 0xfffe
	s_add_co_u32 s2, s28, s30
	s_add_co_ci_u32 s2, s29, s23
	s_mul_i32 s26, s25, s27
	s_add_co_ci_u32 s27, s24, 0
	s_wait_alu 0xfffe
	s_add_nc_u64 s[26:27], s[2:3], s[26:27]
	s_wait_alu 0xfffe
	v_add_co_u32 v4, s2, v4, s26
	s_delay_alu instid0(VALU_DEP_1) | instskip(SKIP_1) | instid1(VALU_DEP_1)
	s_cmp_lg_u32 s2, 0
	s_add_co_ci_u32 s2, s25, s27
	v_mul_hi_u32 v13, v5, v4
	s_wait_alu 0xfffe
	v_mad_co_u64_u32 v[7:8], null, v5, s2, 0
	v_mad_co_u64_u32 v[9:10], null, v6, v4, 0
	;; [unrolled: 1-line block ×3, first 2 shown]
	s_delay_alu instid0(VALU_DEP_3) | instskip(SKIP_1) | instid1(VALU_DEP_4)
	v_add_co_u32 v4, vcc_lo, v13, v7
	s_wait_alu 0xfffd
	v_add_co_ci_u32_e32 v7, vcc_lo, 0, v8, vcc_lo
	s_delay_alu instid0(VALU_DEP_2) | instskip(SKIP_1) | instid1(VALU_DEP_2)
	v_add_co_u32 v4, vcc_lo, v4, v9
	s_wait_alu 0xfffd
	v_add_co_ci_u32_e32 v4, vcc_lo, v7, v10, vcc_lo
	s_wait_alu 0xfffd
	v_add_co_ci_u32_e32 v7, vcc_lo, 0, v12, vcc_lo
	s_delay_alu instid0(VALU_DEP_2) | instskip(SKIP_1) | instid1(VALU_DEP_2)
	v_add_co_u32 v4, vcc_lo, v4, v11
	s_wait_alu 0xfffd
	v_add_co_ci_u32_e32 v9, vcc_lo, 0, v7, vcc_lo
	s_delay_alu instid0(VALU_DEP_2) | instskip(SKIP_1) | instid1(VALU_DEP_3)
	v_mul_lo_u32 v10, s21, v4
	v_mad_co_u64_u32 v[7:8], null, s20, v4, 0
	v_mul_lo_u32 v11, s20, v9
	s_delay_alu instid0(VALU_DEP_2) | instskip(NEXT) | instid1(VALU_DEP_2)
	v_sub_co_u32 v7, vcc_lo, v5, v7
	v_add3_u32 v8, v8, v11, v10
	s_delay_alu instid0(VALU_DEP_1) | instskip(SKIP_1) | instid1(VALU_DEP_1)
	v_sub_nc_u32_e32 v10, v6, v8
	s_wait_alu 0xfffd
	v_subrev_co_ci_u32_e64 v10, s2, s21, v10, vcc_lo
	v_add_co_u32 v11, s2, v4, 2
	s_wait_alu 0xf1ff
	v_add_co_ci_u32_e64 v12, s2, 0, v9, s2
	v_sub_co_u32 v13, s2, v7, s20
	v_sub_co_ci_u32_e32 v8, vcc_lo, v6, v8, vcc_lo
	s_wait_alu 0xf1ff
	v_subrev_co_ci_u32_e64 v10, s2, 0, v10, s2
	s_delay_alu instid0(VALU_DEP_3) | instskip(NEXT) | instid1(VALU_DEP_3)
	v_cmp_le_u32_e32 vcc_lo, s20, v13
	v_cmp_eq_u32_e64 s2, s21, v8
	s_wait_alu 0xfffd
	v_cndmask_b32_e64 v13, 0, -1, vcc_lo
	v_cmp_le_u32_e32 vcc_lo, s21, v10
	s_wait_alu 0xfffd
	v_cndmask_b32_e64 v14, 0, -1, vcc_lo
	v_cmp_le_u32_e32 vcc_lo, s20, v7
	;; [unrolled: 3-line block ×3, first 2 shown]
	s_wait_alu 0xfffd
	v_cndmask_b32_e64 v16, 0, -1, vcc_lo
	v_cmp_eq_u32_e32 vcc_lo, s21, v10
	s_wait_alu 0xf1ff
	s_delay_alu instid0(VALU_DEP_2)
	v_cndmask_b32_e64 v7, v16, v7, s2
	s_wait_alu 0xfffd
	v_cndmask_b32_e32 v10, v14, v13, vcc_lo
	v_add_co_u32 v13, vcc_lo, v4, 1
	s_wait_alu 0xfffd
	v_add_co_ci_u32_e32 v14, vcc_lo, 0, v9, vcc_lo
	s_delay_alu instid0(VALU_DEP_3) | instskip(SKIP_2) | instid1(VALU_DEP_3)
	v_cmp_ne_u32_e32 vcc_lo, 0, v10
	s_wait_alu 0xfffd
	v_cndmask_b32_e32 v10, v13, v11, vcc_lo
	v_cndmask_b32_e32 v8, v14, v12, vcc_lo
	v_cmp_ne_u32_e32 vcc_lo, 0, v7
	s_wait_alu 0xfffd
	s_delay_alu instid0(VALU_DEP_2)
	v_dual_cndmask_b32 v7, v4, v10 :: v_dual_cndmask_b32 v8, v9, v8
.LBB0_4:                                ;   in Loop: Header=BB0_2 Depth=1
	s_wait_alu 0xfffe
	s_and_not1_saveexec_b32 s2, s22
	s_cbranch_execz .LBB0_6
; %bb.5:                                ;   in Loop: Header=BB0_2 Depth=1
	v_cvt_f32_u32_e32 v4, s20
	s_sub_co_i32 s22, 0, s20
	s_delay_alu instid0(VALU_DEP_1) | instskip(NEXT) | instid1(TRANS32_DEP_1)
	v_rcp_iflag_f32_e32 v4, v4
	v_mul_f32_e32 v4, 0x4f7ffffe, v4
	s_delay_alu instid0(VALU_DEP_1) | instskip(SKIP_1) | instid1(VALU_DEP_1)
	v_cvt_u32_f32_e32 v4, v4
	s_wait_alu 0xfffe
	v_mul_lo_u32 v7, s22, v4
	s_delay_alu instid0(VALU_DEP_1) | instskip(NEXT) | instid1(VALU_DEP_1)
	v_mul_hi_u32 v7, v4, v7
	v_add_nc_u32_e32 v4, v4, v7
	s_delay_alu instid0(VALU_DEP_1) | instskip(NEXT) | instid1(VALU_DEP_1)
	v_mul_hi_u32 v4, v5, v4
	v_mul_lo_u32 v7, v4, s20
	v_add_nc_u32_e32 v8, 1, v4
	s_delay_alu instid0(VALU_DEP_2) | instskip(NEXT) | instid1(VALU_DEP_1)
	v_sub_nc_u32_e32 v7, v5, v7
	v_subrev_nc_u32_e32 v9, s20, v7
	v_cmp_le_u32_e32 vcc_lo, s20, v7
	s_wait_alu 0xfffd
	s_delay_alu instid0(VALU_DEP_2) | instskip(NEXT) | instid1(VALU_DEP_1)
	v_dual_cndmask_b32 v7, v7, v9 :: v_dual_cndmask_b32 v4, v4, v8
	v_cmp_le_u32_e32 vcc_lo, s20, v7
	s_delay_alu instid0(VALU_DEP_2) | instskip(SKIP_1) | instid1(VALU_DEP_1)
	v_add_nc_u32_e32 v8, 1, v4
	s_wait_alu 0xfffd
	v_dual_cndmask_b32 v7, v4, v8 :: v_dual_mov_b32 v8, v3
.LBB0_6:                                ;   in Loop: Header=BB0_2 Depth=1
	s_wait_alu 0xfffe
	s_or_b32 exec_lo, exec_lo, s2
	s_load_b64 s[22:23], s[14:15], 0x0
	s_delay_alu instid0(VALU_DEP_1)
	v_mul_lo_u32 v4, v8, s20
	v_mul_lo_u32 v11, v7, s21
	v_mad_co_u64_u32 v[9:10], null, v7, s20, 0
	s_add_nc_u64 s[16:17], s[16:17], 1
	s_add_nc_u64 s[14:15], s[14:15], 8
	s_wait_alu 0xfffe
	v_cmp_ge_u64_e64 s2, s[16:17], s[6:7]
	s_add_nc_u64 s[18:19], s[18:19], 8
	s_delay_alu instid0(VALU_DEP_2) | instskip(NEXT) | instid1(VALU_DEP_3)
	v_add3_u32 v4, v10, v11, v4
	v_sub_co_u32 v5, vcc_lo, v5, v9
	s_wait_alu 0xfffd
	s_delay_alu instid0(VALU_DEP_2) | instskip(SKIP_3) | instid1(VALU_DEP_2)
	v_sub_co_ci_u32_e32 v4, vcc_lo, v6, v4, vcc_lo
	s_and_b32 vcc_lo, exec_lo, s2
	s_wait_kmcnt 0x0
	v_mul_lo_u32 v6, s23, v5
	v_mul_lo_u32 v4, s22, v4
	v_mad_co_u64_u32 v[1:2], null, s22, v5, v[1:2]
	s_delay_alu instid0(VALU_DEP_1)
	v_add3_u32 v2, v6, v2, v4
	s_wait_alu 0xfffe
	s_cbranch_vccnz .LBB0_9
; %bb.7:                                ;   in Loop: Header=BB0_2 Depth=1
	v_dual_mov_b32 v5, v7 :: v_dual_mov_b32 v6, v8
	s_branch .LBB0_2
.LBB0_8:
	v_dual_mov_b32 v8, v6 :: v_dual_mov_b32 v7, v5
.LBB0_9:
	s_lshl_b64 s[2:3], s[6:7], 3
	s_load_b64 s[0:1], s[0:1], 0x20
	s_add_nc_u64 s[2:3], s[12:13], s[2:3]
	v_mul_hi_u32 v3, 0x295fad5, v0
	s_load_b64 s[2:3], s[2:3], 0x0
	v_dual_mov_b32 v30, 0 :: v_dual_mov_b32 v17, 0
                                        ; implicit-def: $vgpr18
                                        ; implicit-def: $vgpr33
                                        ; implicit-def: $vgpr24
                                        ; implicit-def: $vgpr34
                                        ; implicit-def: $vgpr29
                                        ; implicit-def: $vgpr35
                                        ; implicit-def: $vgpr31
	v_dual_mov_b32 v25, 0 :: v_dual_mov_b32 v28, 0
	s_delay_alu instid0(VALU_DEP_3) | instskip(NEXT) | instid1(VALU_DEP_1)
	v_mul_u32_u24_e32 v3, 0x63, v3
	v_sub_nc_u32_e32 v6, v0, v3
	s_delay_alu instid0(VALU_DEP_1)
	v_add_nc_u32_e32 v9, 0x63, v6
	s_wait_kmcnt 0x0
	v_cmp_gt_u64_e32 vcc_lo, s[0:1], v[7:8]
	v_add_nc_u32_e32 v10, 0xc6, v6
	v_mul_lo_u32 v4, s2, v8
	v_mul_lo_u32 v5, s3, v7
	v_mad_co_u64_u32 v[1:2], null, s2, v7, v[1:2]
	v_add_nc_u32_e32 v13, 0x129, v6
	v_add_nc_u32_e32 v11, 0x18c, v6
	;; [unrolled: 1-line block ×4, first 2 shown]
	v_add3_u32 v2, v5, v2, v4
                                        ; implicit-def: $vgpr5
                                        ; implicit-def: $vgpr4
	s_delay_alu instid0(VALU_DEP_1)
	v_lshlrev_b64_e32 v[0:1], 2, v[1:2]
                                        ; implicit-def: $vgpr2
	s_and_saveexec_b32 s1, vcc_lo
	s_cbranch_execz .LBB0_11
; %bb.10:
	v_mad_co_u64_u32 v[2:3], null, s8, v6, 0
	v_mad_co_u64_u32 v[4:5], null, s8, v9, 0
	;; [unrolled: 1-line block ×4, first 2 shown]
	v_add_co_u32 v31, s0, s10, v0
	s_delay_alu instid0(VALU_DEP_4) | instskip(NEXT) | instid1(VALU_DEP_4)
	v_mad_co_u64_u32 v[18:19], null, s9, v6, v[3:4]
	v_mov_b32_e32 v3, v8
	v_mad_co_u64_u32 v[19:20], null, s9, v9, v[5:6]
	v_mov_b32_e32 v8, v17
	s_wait_alu 0xf1ff
	v_add_co_ci_u32_e64 v35, s0, s11, v1, s0
	v_mad_co_u64_u32 v[20:21], null, s9, v10, v[3:4]
	v_mov_b32_e32 v3, v18
	v_mad_co_u64_u32 v[17:18], null, s9, v13, v[8:9]
	v_dual_mov_b32 v5, v19 :: v_dual_add_nc_u32 v28, 0x1ef, v6
	v_mad_co_u64_u32 v[18:19], null, s8, v11, 0
	v_mov_b32_e32 v8, v20
	v_lshlrev_b64_e32 v[2:3], 2, v[2:3]
	s_delay_alu instid0(VALU_DEP_4) | instskip(SKIP_2) | instid1(VALU_DEP_4)
	v_lshlrev_b64_e32 v[4:5], 2, v[4:5]
	v_mad_co_u64_u32 v[20:21], null, s8, v28, 0
	v_mad_co_u64_u32 v[22:23], null, s8, v14, 0
	v_add_co_u32 v2, s0, v31, v2
	s_wait_alu 0xf1ff
	v_add_co_ci_u32_e64 v3, s0, v35, v3, s0
	v_add_co_u32 v4, s0, v31, v4
	v_add_nc_u32_e32 v34, 0x318, v6
	global_load_b32 v2, v[2:3], off
	v_mov_b32_e32 v3, v19
	v_mov_b32_e32 v19, v21
	v_mad_co_u64_u32 v[24:25], null, s8, v12, 0
	v_lshlrev_b64_e32 v[7:8], 2, v[7:8]
	s_delay_alu instid0(VALU_DEP_4)
	v_mad_co_u64_u32 v[26:27], null, s9, v11, v[3:4]
	v_mov_b32_e32 v3, v23
	v_mad_co_u64_u32 v[27:28], null, s9, v28, v[19:20]
	v_lshlrev_b64_e32 v[16:17], 2, v[16:17]
	s_wait_alu 0xf1ff
	v_add_co_ci_u32_e64 v5, s0, v35, v5, s0
	v_mad_co_u64_u32 v[28:29], null, s9, v14, v[3:4]
	v_mad_co_u64_u32 v[29:30], null, s8, v34, 0
	v_add_co_u32 v7, s0, v31, v7
	v_mov_b32_e32 v3, v25
	s_wait_alu 0xf1ff
	v_add_co_ci_u32_e64 v8, s0, v35, v8, s0
	v_add_co_u32 v32, s0, v31, v16
	s_wait_alu 0xf1ff
	v_add_co_ci_u32_e64 v33, s0, v35, v17, s0
	v_mad_co_u64_u32 v[16:17], null, s9, v12, v[3:4]
	v_mov_b32_e32 v3, v30
	v_mov_b32_e32 v19, v26
	;; [unrolled: 1-line block ×4, first 2 shown]
	s_delay_alu instid0(VALU_DEP_4) | instskip(NEXT) | instid1(VALU_DEP_4)
	v_mad_co_u64_u32 v[26:27], null, s9, v34, v[3:4]
	v_lshlrev_b64_e32 v[17:18], 2, v[18:19]
	s_delay_alu instid0(VALU_DEP_4) | instskip(SKIP_3) | instid1(VALU_DEP_4)
	v_lshlrev_b64_e32 v[19:20], 2, v[20:21]
	v_mov_b32_e32 v25, v16
	v_lshlrev_b64_e32 v[21:22], 2, v[22:23]
	v_mov_b32_e32 v30, v26
	v_add_co_u32 v19, s0, v31, v19
	s_delay_alu instid0(VALU_DEP_4)
	v_lshlrev_b64_e32 v[23:24], 2, v[24:25]
	s_wait_alu 0xf1ff
	v_add_co_ci_u32_e64 v20, s0, v35, v20, s0
	v_add_co_u32 v21, s0, v31, v21
	v_lshlrev_b64_e32 v[25:26], 2, v[29:30]
	s_wait_alu 0xf1ff
	v_add_co_ci_u32_e64 v22, s0, v35, v22, s0
	v_add_co_u32 v27, s0, v31, v23
	s_wait_alu 0xf1ff
	v_add_co_ci_u32_e64 v28, s0, v35, v24, s0
	v_add_co_u32 v25, s0, v31, v25
	;; [unrolled: 3-line block ×3, first 2 shown]
	s_wait_alu 0xf1ff
	v_add_co_ci_u32_e64 v35, s0, v35, v18, s0
	s_clause 0x7
	global_load_b32 v18, v[19:20], off
	global_load_b32 v24, v[21:22], off
	global_load_b32 v29, v[27:28], off
	global_load_b32 v31, v[25:26], off
	global_load_b32 v30, v[4:5], off
	global_load_b32 v17, v[7:8], off
	global_load_b32 v25, v[32:33], off
	global_load_b32 v28, v[34:35], off
	s_wait_loadcnt 0x8
	v_lshrrev_b32_e32 v5, 16, v2
	s_wait_loadcnt 0x7
	v_lshrrev_b32_e32 v4, 16, v18
	;; [unrolled: 2-line block ×5, first 2 shown]
.LBB0_11:
	s_wait_alu 0xfffe
	s_or_b32 exec_lo, exec_lo, s1
	s_wait_loadcnt 0x3
	v_add_f16_e32 v7, v31, v30
	s_wait_loadcnt 0x2
	v_add_f16_e32 v16, v29, v17
	;; [unrolled: 2-line block ×3, first 2 shown]
	v_lshrrev_b32_e32 v40, 16, v17
	v_lshrrev_b32_e32 v39, 16, v30
	s_wait_loadcnt 0x0
	v_lshrrev_b32_e32 v32, 16, v28
	v_add_f16_e32 v23, v7, v16
	v_lshrrev_b32_e32 v41, 16, v25
	v_sub_f16_e32 v19, v40, v34
	v_sub_f16_e32 v21, v39, v35
	;; [unrolled: 1-line block ×3, first 2 shown]
	v_add_f16_e32 v3, v23, v20
	v_and_b32_e32 v8, 1, v15
	v_mul_f16_e32 v26, 0x3be1, v19
	v_add_f16_e32 v36, v18, v28
	v_sub_f16_e32 v27, v41, v33
	v_add_f16_e32 v3, v3, v28
	v_mul_f16_e32 v37, 0xb924, v22
	v_fmac_f16_e32 v26, 0x3924, v21
	v_cmp_eq_u32_e64 s0, 1, v8
	v_fmamk_f16 v38, v7, 0x3a21, v2
	v_add_f16_e32 v3, v18, v3
	v_fmamk_f16 v15, v36, 0x3a21, v2
	v_add_f16_e32 v8, v2, v20
	v_mul_f16_e32 v42, 0x3be1, v22
	v_fmac_f16_e32 v37, 0x3be1, v21
	v_add_f16_e32 v3, v2, v3
	v_fmac_f16_e32 v2, 0x3a21, v16
	v_fmac_f16_e32 v26, 0x3aee, v27
	;; [unrolled: 1-line block ×3, first 2 shown]
	v_fma_f16 v42, v19, 0xb924, -v42
	v_fmac_f16_e32 v37, 0xbaee, v27
	v_fmac_f16_e32 v2, 0x318f, v36
	;; [unrolled: 1-line block ×4, first 2 shown]
	v_fmac_f16_e32 v15, -0.5, v20
	v_add_f16_e32 v22, v21, v22
	v_add_f16_e32 v23, v23, v36
	v_fmac_f16_e32 v42, 0x3aee, v27
	v_fmac_f16_e32 v2, -0.5, v20
	v_fmac_f16_e32 v37, 0x3579, v19
	v_fmac_f16_e32 v15, 0xbb84, v16
	v_sub_f16_e32 v16, v22, v19
	v_fmac_f16_e32 v8, -0.5, v23
	v_fmac_f16_e32 v42, 0x3579, v21
	v_fmac_f16_e32 v2, 0xbb84, v7
	v_fmac_f16_e32 v38, -0.5, v20
	v_add_f16_e32 v15, v37, v15
	v_mul_f16_e32 v7, 0x3aee, v16
	v_fmac_f16_e32 v8, 0x3aee, v16
	v_add_f16_e32 v16, v2, v42
	v_fmac_f16_e32 v38, 0xbb84, v36
	s_wait_alu 0xf1ff
	v_cndmask_b32_e64 v46, 0, 0x37b, s0
	v_mad_u32_u24 v36, v6, 18, 0
	v_fma_f16 v21, -2.0, v37, v15
	v_fma_f16 v20, -2.0, v7, v8
	;; [unrolled: 1-line block ×3, first 2 shown]
	v_add_f16_e32 v23, v38, v26
	v_lshl_add_u32 v38, v46, 1, v36
	v_pack_b32_f16 v43, v15, v8
	v_pack_b32_f16 v45, v20, v21
	;; [unrolled: 1-line block ×4, first 2 shown]
	v_fma_f16 v22, -2.0, v26, v23
	v_cmp_gt_u32_e64 s0, 0x51, v6
	v_lshlrev_b32_e32 v7, 1, v46
	v_lshlrev_b32_e32 v2, 1, v6
	;; [unrolled: 1-line block ×3, first 2 shown]
	ds_store_b128 v38, v[42:45]
	ds_store_b16 v38, v22 offset:16
	global_wb scope:SCOPE_SE
	s_wait_dscnt 0x0
	s_barrier_signal -1
	s_barrier_wait -1
	global_inv scope:SCOPE_SE
                                        ; implicit-def: $vgpr26
                                        ; implicit-def: $vgpr27
	s_and_saveexec_b32 s1, s0
	s_cbranch_execz .LBB0_13
; %bb.12:
	v_sub_nc_u32_e32 v3, v36, v37
	v_add3_u32 v8, 0, v7, v2
	s_delay_alu instid0(VALU_DEP_2)
	v_add_nc_u32_e32 v26, v3, v7
	ds_load_u16 v3, v8
	ds_load_u16 v23, v26 offset:162
	ds_load_u16 v15, v26 offset:324
	;; [unrolled: 1-line block ×10, first 2 shown]
.LBB0_13:
	s_wait_alu 0xfffe
	s_or_b32 exec_lo, exec_lo, s1
	v_add_f16_e32 v35, v35, v39
	v_add_f16_e32 v34, v34, v40
	;; [unrolled: 1-line block ×3, first 2 shown]
	v_sub_f16_e32 v30, v30, v31
	v_sub_f16_e32 v18, v28, v18
	;; [unrolled: 1-line block ×3, first 2 shown]
	v_add_f16_e32 v31, v35, v34
	v_add_f16_e32 v25, v4, v32
	v_sub_f16_e32 v17, v17, v29
	v_fmamk_f16 v29, v35, 0x3a21, v5
	v_mul_f16_e32 v40, 0xb924, v18
	v_add_f16_e32 v28, v31, v33
	v_fmamk_f16 v41, v25, 0x3a21, v5
	v_add_f16_e32 v42, v30, v18
	v_mul_f16_e32 v43, 0x3be1, v18
	v_mul_f16_e32 v39, 0x3be1, v17
	v_add_f16_e32 v32, v28, v32
	v_add_f16_e32 v28, v5, v33
	v_fmac_f16_e32 v40, 0x3be1, v30
	v_fmac_f16_e32 v41, 0x318f, v35
	;; [unrolled: 1-line block ×3, first 2 shown]
	v_add_f16_e32 v4, v4, v32
	v_sub_f16_e32 v32, v42, v17
	v_fma_f16 v42, v17, 0xb924, -v43
	v_fmac_f16_e32 v29, 0x318f, v34
	v_add_f16_e32 v31, v31, v25
	v_add_f16_e32 v4, v5, v4
	v_fmac_f16_e32 v5, 0x3a21, v34
	v_fmac_f16_e32 v40, 0xbaee, v24
	v_fmac_f16_e32 v41, -0.5, v33
	v_fmac_f16_e32 v42, 0x3aee, v24
	v_fmac_f16_e32 v39, 0x3aee, v24
	;; [unrolled: 1-line block ×3, first 2 shown]
	v_fmac_f16_e32 v29, -0.5, v33
	v_fmac_f16_e32 v28, -0.5, v31
	v_fmac_f16_e32 v40, 0x3579, v17
	v_fmac_f16_e32 v41, 0xbb84, v34
	v_fmac_f16_e32 v5, -0.5, v33
	v_fmac_f16_e32 v42, 0x3579, v30
	v_mul_f16_e32 v43, 0x3aee, v32
	v_fmac_f16_e32 v39, 0x3579, v18
	v_fmac_f16_e32 v29, 0xbb84, v25
	;; [unrolled: 1-line block ×4, first 2 shown]
	v_sub_f16_e32 v34, v41, v40
	global_wb scope:SCOPE_SE
	s_wait_dscnt 0x0
	v_sub_f16_e32 v41, v29, v39
	v_sub_f16_e32 v32, v5, v42
	v_fma_f16 v29, 2.0, v43, v28
	v_fma_f16 v31, 2.0, v40, v34
	v_pack_b32_f16 v45, v34, v28
	v_pack_b32_f16 v44, v4, v41
	v_fma_f16 v35, 2.0, v42, v32
	v_fma_f16 v43, 2.0, v39, v41
	v_pack_b32_f16 v47, v29, v31
	s_barrier_signal -1
	s_barrier_wait -1
	v_pack_b32_f16 v46, v32, v35
	global_inv scope:SCOPE_SE
	ds_store_b128 v38, v[44:47]
	ds_store_b16 v38, v43 offset:16
	global_wb scope:SCOPE_SE
	s_wait_dscnt 0x0
	s_barrier_signal -1
	s_barrier_wait -1
	global_inv scope:SCOPE_SE
                                        ; implicit-def: $vgpr46
                                        ; implicit-def: $vgpr45
	s_and_saveexec_b32 s1, s0
	s_cbranch_execz .LBB0_15
; %bb.14:
	v_sub_nc_u32_e32 v4, v36, v37
	v_add3_u32 v5, 0, v7, v2
	s_delay_alu instid0(VALU_DEP_2)
	v_add_nc_u32_e32 v17, v4, v7
	ds_load_u16 v4, v5
	ds_load_u16 v41, v17 offset:162
	ds_load_u16 v34, v17 offset:324
	;; [unrolled: 1-line block ×10, first 2 shown]
.LBB0_15:
	s_wait_alu 0xfffe
	s_or_b32 exec_lo, exec_lo, s1
	v_and_b32_e32 v5, 0xff, v6
	s_delay_alu instid0(VALU_DEP_1) | instskip(NEXT) | instid1(VALU_DEP_1)
	v_mul_lo_u16 v5, v5, 57
	v_lshrrev_b16 v5, 9, v5
	s_delay_alu instid0(VALU_DEP_1) | instskip(SKIP_1) | instid1(VALU_DEP_2)
	v_mul_lo_u16 v17, v5, 9
	v_and_b32_e32 v5, 0xffff, v5
	v_sub_nc_u16 v17, v6, v17
	s_delay_alu instid0(VALU_DEP_1) | instskip(NEXT) | instid1(VALU_DEP_1)
	v_and_b32_e32 v57, 0xff, v17
	v_mul_u32_u24_e32 v17, 10, v57
	s_delay_alu instid0(VALU_DEP_1)
	v_lshlrev_b32_e32 v17, 2, v17
	s_clause 0x2
	global_load_b128 v[47:50], v17, s[4:5]
	global_load_b128 v[51:54], v17, s[4:5] offset:16
	global_load_b64 v[55:56], v17, s[4:5] offset:32
	global_wb scope:SCOPE_SE
	s_wait_loadcnt_dscnt 0x0
	s_barrier_signal -1
	s_barrier_wait -1
	global_inv scope:SCOPE_SE
	v_lshrrev_b32_e32 v17, 16, v47
	v_lshrrev_b32_e32 v18, 16, v48
	;; [unrolled: 1-line block ×10, first 2 shown]
	v_mul_f16_e32 v58, v41, v17
	v_mul_f16_e32 v42, v23, v17
	;; [unrolled: 1-line block ×20, first 2 shown]
	v_fma_f16 v44, v23, v47, -v58
	v_fmac_f16_e32 v42, v41, v47
	v_fma_f16 v41, v15, v48, -v59
	v_fmac_f16_e32 v40, v34, v48
	v_fma_f16 v36, v8, v49, -v60
	v_fmac_f16_e32 v30, v28, v49
	v_fma_f16 v28, v16, v50, -v61
	v_fmac_f16_e32 v24, v32, v50
	v_fma_f16 v19, v19, v51, -v62
	v_fmac_f16_e32 v17, v35, v51
	v_fma_f16 v20, v20, v52, -v63
	v_fmac_f16_e32 v18, v29, v52
	v_fma_f16 v29, v21, v53, -v64
	v_fmac_f16_e32 v25, v31, v53
	v_fma_f16 v37, v22, v54, -v37
	v_fmac_f16_e32 v33, v43, v54
	v_fma_f16 v43, v27, v55, -v65
	v_fmac_f16_e32 v39, v45, v55
	v_fma_f16 v45, v26, v56, -v66
	v_fmac_f16_e32 v38, v46, v56
	v_lshlrev_b32_e32 v16, 1, v57
	s_and_saveexec_b32 s1, s0
	s_cbranch_execz .LBB0_17
; %bb.16:
	s_delay_alu instid0(VALU_DEP_2)
	v_sub_f16_e32 v21, v42, v38
	v_add_f16_e32 v15, v44, v45
	v_sub_f16_e32 v23, v40, v39
	v_add_f16_e32 v22, v41, v43
	v_sub_f16_e32 v27, v30, v33
	v_mul_f16_e32 v46, 0xb482, v21
	v_add_f16_e32 v26, v36, v37
	v_mul_f16_e32 v47, 0x3853, v23
	v_sub_f16_e32 v32, v24, v25
	v_mul_f16_e32 v48, 0xba0c, v27
	v_fmamk_f16 v51, v15, 0xbbad, v46
	v_fma_f16 v46, v15, 0xbbad, -v46
	v_fmamk_f16 v54, v22, 0x3abb, v47
	v_fma_f16 v47, v22, 0x3abb, -v47
	v_add_f16_e32 v31, v28, v29
	v_add_f16_e32 v51, v3, v51
	;; [unrolled: 1-line block ×3, first 2 shown]
	v_sub_f16_e32 v35, v17, v18
	v_mul_f16_e32 v49, 0x3b47, v32
	v_fmamk_f16 v55, v26, 0xb93d, v48
	v_add_f16_e32 v51, v54, v51
	v_fma_f16 v48, v26, 0xb93d, -v48
	v_add_f16_e32 v46, v47, v46
	v_add_f16_e32 v34, v19, v20
	v_mul_f16_e32 v50, 0xbbeb, v35
	v_mul_f16_e32 v52, 0xba0c, v21
	v_fmamk_f16 v56, v31, 0x36a6, v49
	v_add_f16_e32 v51, v55, v51
	v_fma_f16 v49, v31, 0x36a6, -v49
	v_add_f16_e32 v46, v48, v46
	v_mul_f16_e32 v53, 0x3beb, v23
	v_fmamk_f16 v54, v34, 0xb08e, v50
	v_fmamk_f16 v55, v15, 0xb93d, v52
	v_add_f16_e32 v47, v56, v51
	v_add_f16_e32 v46, v49, v46
	v_fma_f16 v49, v34, 0xb08e, -v50
	v_fma_f16 v50, v15, 0xb93d, -v52
	v_add_f16_e32 v51, v3, v55
	v_add_f16_e32 v47, v54, v47
	v_fmamk_f16 v48, v22, 0xb08e, v53
	v_mul_f16_e32 v54, 0xb853, v27
	v_add_f16_e32 v46, v49, v46
	v_add_f16_e32 v49, v3, v50
	v_fma_f16 v50, v22, 0xb08e, -v53
	v_add_f16_e32 v48, v48, v51
	v_fmamk_f16 v51, v26, 0x3abb, v54
	v_mul_f16_e32 v52, 0xb482, v32
	v_mul_f16_e32 v53, 0xbbeb, v21
	v_add_f16_e32 v49, v50, v49
	v_fma_f16 v50, v26, 0x3abb, -v54
	v_add_f16_e32 v48, v51, v48
	v_fmamk_f16 v51, v31, 0xbbad, v52
	v_mul_f16_e32 v54, 0x3482, v23
	v_mul_f16_e32 v57, 0x3b47, v27
	v_add_f16_e32 v49, v50, v49
	v_fma_f16 v50, v31, 0xbbad, -v52
	v_add_f16_e32 v48, v51, v48
	v_fmamk_f16 v51, v15, 0xb08e, v53
	v_fmamk_f16 v52, v22, 0xbbad, v54
	v_fma_f16 v54, v22, 0xbbad, -v54
	v_add_f16_e32 v49, v50, v49
	v_fma_f16 v50, v15, 0xb08e, -v53
	v_add_f16_e32 v51, v3, v51
	v_add_f16_e32 v8, v3, v44
	v_mul_f16_e32 v55, 0x3b47, v35
	v_mul_f16_e32 v53, 0xb853, v32
	v_add_f16_e32 v50, v3, v50
	v_add_f16_e32 v51, v52, v51
	v_fmamk_f16 v52, v26, 0x36a6, v57
	v_add_f16_e32 v8, v8, v41
	v_fmamk_f16 v56, v34, 0x36a6, v55
	v_add_f16_e32 v50, v54, v50
	v_fma_f16 v54, v26, 0x36a6, -v57
	v_add_f16_e32 v51, v52, v51
	v_fmamk_f16 v52, v31, 0x3abb, v53
	v_mul_f16_e32 v57, 0xba0c, v35
	v_fma_f16 v53, v31, 0x3abb, -v53
	v_add_f16_e32 v50, v54, v50
	v_add_f16_e32 v8, v8, v36
	;; [unrolled: 1-line block ×3, first 2 shown]
	v_fma_f16 v55, v34, 0x36a6, -v55
	v_mul_f16_e32 v56, 0xbb47, v21
	v_add_f16_e32 v50, v53, v50
	v_fma_f16 v53, v34, 0xb93d, -v57
	v_add_f16_e32 v8, v8, v28
	v_add_f16_e32 v49, v55, v49
	;; [unrolled: 1-line block ×3, first 2 shown]
	v_fmamk_f16 v52, v15, 0x36a6, v56
	v_mul_f16_e32 v55, 0xba0c, v23
	v_fmamk_f16 v59, v34, 0xb93d, v57
	v_add_f16_e32 v50, v53, v50
	v_fma_f16 v53, v15, 0x36a6, -v56
	v_mul_f16_e32 v21, 0xb853, v21
	v_add_f16_e32 v8, v8, v19
	v_add_f16_e32 v52, v3, v52
	v_fmamk_f16 v54, v22, 0xb93d, v55
	v_mul_f16_e32 v58, 0x3482, v27
	v_add_f16_e32 v51, v59, v51
	v_add_f16_e32 v53, v3, v53
	v_fma_f16 v55, v22, 0xb93d, -v55
	v_fma_f16 v59, v15, 0x3abb, -v21
	v_mul_f16_e32 v23, 0xbb47, v23
	v_add_f16_e32 v8, v8, v20
	v_add_f16_e32 v52, v54, v52
	v_fmamk_f16 v54, v26, 0xbbad, v58
	v_add_f16_e32 v53, v55, v53
	v_fma_f16 v55, v26, 0xbbad, -v58
	v_fmamk_f16 v15, v15, 0x3abb, v21
	v_add_f16_e32 v21, v3, v59
	v_fma_f16 v58, v22, 0x36a6, -v23
	v_mul_f16_e32 v27, 0xbbeb, v27
	v_add_f16_e32 v8, v8, v29
	v_add_f16_e32 v3, v3, v15
	v_fmamk_f16 v15, v22, 0x36a6, v23
	v_add_f16_e32 v21, v58, v21
	v_fma_f16 v22, v26, 0xb08e, -v27
	v_mul_f16_e32 v23, 0xba0c, v32
	v_mul_f16_e32 v57, 0x3beb, v32
	v_add_f16_e32 v8, v8, v37
	v_add_f16_e32 v3, v15, v3
	v_fmamk_f16 v15, v26, 0xb08e, v27
	v_add_f16_e32 v21, v22, v21
	v_fma_f16 v22, v31, 0xb93d, -v23
	v_mul_f16_e32 v27, 0xb482, v35
	v_mul_f16_e32 v56, 0x3853, v35
	v_add_f16_e32 v53, v55, v53
	v_fma_f16 v32, v31, 0xb08e, -v57
	v_add_f16_e32 v8, v8, v43
	v_add_f16_e32 v52, v54, v52
	v_fmamk_f16 v54, v31, 0xb08e, v57
	v_add_f16_e32 v3, v15, v3
	v_fmamk_f16 v15, v31, 0xb93d, v23
	v_add_f16_e32 v21, v22, v21
	v_mad_u32_u24 v22, 0xc6, v5, 0
	v_fma_f16 v23, v34, 0xbbad, -v27
	v_add_f16_e32 v26, v32, v53
	v_fma_f16 v31, v34, 0x3abb, -v56
	v_add_f16_e32 v8, v8, v45
	v_add_f16_e32 v52, v54, v52
	v_fmamk_f16 v54, v34, 0x3abb, v56
	v_add_f16_e32 v3, v15, v3
	v_fmamk_f16 v15, v34, 0xbbad, v27
	v_add3_u32 v22, v22, v16, v7
	v_add_f16_e32 v21, v23, v21
	v_add_f16_e32 v23, v31, v26
	;; [unrolled: 1-line block ×4, first 2 shown]
	ds_store_b16 v22, v8
	ds_store_b16 v22, v21 offset:18
	ds_store_b16 v22, v23 offset:36
	ds_store_b16 v22, v50 offset:54
	ds_store_b16 v22, v49 offset:72
	ds_store_b16 v22, v46 offset:90
	ds_store_b16 v22, v47 offset:108
	ds_store_b16 v22, v48 offset:126
	ds_store_b16 v22, v51 offset:144
	ds_store_b16 v22, v26 offset:162
	ds_store_b16 v22, v3 offset:180
.LBB0_17:
	s_wait_alu 0xfffe
	s_or_b32 exec_lo, exec_lo, s1
	v_add3_u32 v8, 0, v7, v2
	v_add3_u32 v15, 0, v2, v7
	global_wb scope:SCOPE_SE
	s_wait_dscnt 0x0
	s_barrier_signal -1
	s_barrier_wait -1
	global_inv scope:SCOPE_SE
	ds_load_u16 v21, v8
	ds_load_u16 v22, v15 offset:198
	ds_load_u16 v32, v15 offset:792
	;; [unrolled: 1-line block ×8, first 2 shown]
	global_wb scope:SCOPE_SE
	s_wait_dscnt 0x0
	s_barrier_signal -1
	s_barrier_wait -1
	global_inv scope:SCOPE_SE
	s_and_saveexec_b32 s1, s0
	s_cbranch_execz .LBB0_19
; %bb.18:
	v_add_f16_e32 v3, v4, v42
	v_sub_f16_e32 v44, v44, v45
	v_add_f16_e32 v42, v42, v38
	v_sub_f16_e32 v41, v41, v43
	v_add_f16_e32 v45, v40, v39
	v_add_f16_e32 v3, v3, v40
	v_mul_f16_e32 v43, 0xbb47, v44
	v_mul_f16_e32 v46, 0xbbeb, v44
	;; [unrolled: 1-line block ×4, first 2 shown]
	v_add_f16_e32 v3, v3, v30
	v_fmamk_f16 v52, v42, 0x36a6, v43
	v_fma_f16 v43, v42, 0x36a6, -v43
	v_mul_f16_e32 v47, 0xba0c, v44
	v_mul_f16_e32 v44, 0xb482, v44
	v_add_f16_e32 v3, v3, v24
	v_mul_f16_e32 v50, 0x3482, v41
	v_fmamk_f16 v53, v42, 0xb08e, v46
	v_fma_f16 v46, v42, 0xb08e, -v46
	v_add_f16_e32 v43, v4, v43
	v_add_f16_e32 v3, v3, v17
	v_mul_f16_e32 v48, 0xbb47, v41
	v_fmamk_f16 v51, v42, 0x3abb, v40
	v_fmamk_f16 v54, v42, 0xb93d, v47
	v_fma_f16 v47, v42, 0xb93d, -v47
	v_add_f16_e32 v3, v3, v18
	v_fmamk_f16 v55, v42, 0xbbad, v44
	v_fmamk_f16 v56, v45, 0xb93d, v49
	v_add_f16_e32 v46, v4, v46
	v_sub_f16_e32 v36, v36, v37
	v_add_f16_e32 v3, v3, v25
	v_fma_f16 v40, v42, 0x3abb, -v40
	v_fma_f16 v42, v42, 0xbbad, -v44
	v_fmamk_f16 v44, v45, 0x36a6, v48
	v_add_f16_e32 v51, v4, v51
	v_add_f16_e32 v3, v3, v33
	;; [unrolled: 1-line block ×3, first 2 shown]
	v_mul_f16_e32 v33, 0xbbeb, v36
	v_fma_f16 v48, v45, 0x36a6, -v48
	v_add_f16_e32 v40, v4, v40
	v_add_f16_e32 v3, v3, v39
	;; [unrolled: 1-line block ×7, first 2 shown]
	v_fma_f16 v38, v45, 0xb93d, -v49
	v_fma_f16 v49, v45, 0xbbad, -v50
	v_add_f16_e32 v54, v4, v54
	v_add_f16_e32 v4, v4, v42
	;; [unrolled: 1-line block ×4, first 2 shown]
	v_mul_f16_e32 v43, 0x3beb, v41
	v_mul_f16_e32 v41, 0x3853, v41
	v_add_f16_e32 v46, v49, v46
	v_fmamk_f16 v44, v45, 0xbbad, v50
	v_add_f16_e32 v40, v48, v40
	v_fmamk_f16 v37, v45, 0xb08e, v43
	v_fma_f16 v43, v45, 0xb08e, -v43
	v_fmamk_f16 v49, v45, 0x3abb, v41
	v_fma_f16 v41, v45, 0x3abb, -v41
	;; [unrolled: 2-line block ×3, first 2 shown]
	v_add_f16_e32 v39, v43, v39
	v_add_f16_e32 v43, v49, v47
	v_mul_f16_e32 v47, 0x3482, v36
	v_add_f16_e32 v4, v41, v4
	v_mul_f16_e32 v41, 0x3b47, v36
	v_add_f16_e32 v42, v45, v42
	v_add_f16_e32 v44, v44, v53
	v_fmamk_f16 v45, v30, 0xbbad, v47
	v_fma_f16 v47, v30, 0xbbad, -v47
	v_add_f16_e32 v33, v33, v40
	v_fmamk_f16 v40, v30, 0x36a6, v41
	v_fma_f16 v41, v30, 0x36a6, -v41
	v_sub_f16_e32 v28, v28, v29
	v_add_f16_e32 v38, v47, v38
	v_mul_f16_e32 v47, 0xb853, v36
	v_mul_f16_e32 v29, 0xba0c, v36
	v_add_f16_e32 v37, v37, v54
	v_add_f16_e32 v40, v40, v44
	;; [unrolled: 1-line block ×3, first 2 shown]
	v_fmamk_f16 v36, v30, 0x3abb, v47
	v_fma_f16 v44, v30, 0x3abb, -v47
	v_add_f16_e32 v24, v24, v25
	v_mul_f16_e32 v25, 0xba0c, v28
	v_fmamk_f16 v46, v30, 0xb93d, v29
	v_add_f16_e32 v36, v36, v37
	v_add_f16_e32 v37, v44, v39
	v_fma_f16 v29, v30, 0xb93d, -v29
	v_fmamk_f16 v30, v24, 0xb93d, v25
	v_add_f16_e32 v39, v46, v43
	v_mul_f16_e32 v43, 0x3beb, v28
	v_fma_f16 v25, v24, 0xb93d, -v25
	v_add_f16_e32 v4, v29, v4
	v_add_f16_e32 v29, v30, v42
	v_mul_f16_e32 v30, 0xb853, v28
	v_fmamk_f16 v42, v24, 0xb08e, v43
	v_add_f16_e32 v25, v25, v33
	v_fma_f16 v33, v24, 0xb08e, -v43
	v_mul_f16_e32 v43, 0xb482, v28
	v_mul_f16_e32 v28, 0x3b47, v28
	v_sub_f16_e32 v19, v19, v20
	v_fmamk_f16 v44, v24, 0x3abb, v30
	v_add_f16_e32 v33, v33, v38
	v_fmamk_f16 v38, v24, 0xbbad, v43
	v_fma_f16 v30, v24, 0x3abb, -v30
	v_add_f16_e32 v17, v17, v18
	v_mul_f16_e32 v18, 0xb482, v19
	v_add_f16_e32 v48, v56, v52
	v_add_f16_e32 v20, v38, v36
	v_fma_f16 v36, v24, 0xbbad, -v43
	v_fmamk_f16 v38, v24, 0x36a6, v28
	v_fma_f16 v24, v24, 0x36a6, -v28
	v_add_f16_e32 v45, v45, v48
	v_add_f16_e32 v30, v30, v41
	v_add_f16_e32 v28, v36, v37
	v_mul_f16_e32 v37, 0x3853, v19
	v_add_f16_e32 v36, v38, v39
	v_fmamk_f16 v38, v17, 0xbbad, v18
	v_add_f16_e32 v4, v24, v4
	v_fma_f16 v18, v17, 0xbbad, -v18
	v_mul_f16_e32 v24, 0xba0c, v19
	v_fmamk_f16 v39, v17, 0x3abb, v37
	v_fma_f16 v37, v17, 0x3abb, -v37
	v_add_f16_e32 v42, v42, v45
	v_add_f16_e32 v18, v18, v25
	v_fmamk_f16 v25, v17, 0xb93d, v24
	v_fma_f16 v24, v17, 0xb93d, -v24
	v_add_f16_e32 v33, v37, v33
	v_mul_f16_e32 v37, 0x3b47, v19
	v_mul_f16_e32 v19, 0xbbeb, v19
	v_mad_u32_u24 v5, 0xc6, v5, 0
	v_add_f16_e32 v40, v44, v40
	v_add_f16_e32 v24, v24, v30
	v_fmamk_f16 v30, v17, 0x36a6, v37
	v_add_f16_e32 v29, v38, v29
	v_add_f16_e32 v38, v39, v42
	v_fma_f16 v37, v17, 0x36a6, -v37
	v_fmamk_f16 v39, v17, 0xb08e, v19
	v_fma_f16 v17, v17, 0xb08e, -v19
	v_add3_u32 v5, v5, v16, v7
	v_add_f16_e32 v25, v25, v40
	v_add_f16_e32 v16, v30, v20
	;; [unrolled: 1-line block ×5, first 2 shown]
	ds_store_b16 v5, v3
	ds_store_b16 v5, v29 offset:18
	ds_store_b16 v5, v38 offset:36
	;; [unrolled: 1-line block ×10, first 2 shown]
.LBB0_19:
	s_wait_alu 0xfffe
	s_or_b32 exec_lo, exec_lo, s1
	v_mov_b32_e32 v3, 0
	global_wb scope:SCOPE_SE
	s_wait_dscnt 0x0
	s_barrier_signal -1
	s_barrier_wait -1
	global_inv scope:SCOPE_SE
	v_lshlrev_b64_e32 v[4:5], 2, v[2:3]
	v_and_b32_e32 v2, 0xffff, v10
	s_delay_alu instid0(VALU_DEP_1) | instskip(NEXT) | instid1(VALU_DEP_3)
	v_mul_u32_u24_e32 v2, 0xa57f, v2
	v_add_co_u32 v4, s0, s4, v4
	s_wait_alu 0xf1ff
	s_delay_alu instid0(VALU_DEP_4) | instskip(NEXT) | instid1(VALU_DEP_3)
	v_add_co_ci_u32_e64 v5, s0, s5, v5, s0
	v_lshrrev_b32_e32 v2, 22, v2
	global_load_b64 v[16:17], v[4:5], off offset:360
	v_mul_lo_u16 v2, 0x63, v2
	s_delay_alu instid0(VALU_DEP_1) | instskip(NEXT) | instid1(VALU_DEP_1)
	v_sub_nc_u16 v2, v10, v2
	v_and_b32_e32 v2, 0xffff, v2
	s_delay_alu instid0(VALU_DEP_1)
	v_lshlrev_b32_e32 v18, 3, v2
	v_lshlrev_b32_e32 v2, 1, v2
	global_load_b64 v[18:19], v18, s[4:5] offset:360
	ds_load_u16 v20, v15 offset:594
	ds_load_u16 v24, v15 offset:1188
	;; [unrolled: 1-line block ×4, first 2 shown]
	ds_load_u16 v29, v8
	ds_load_u16 v30, v15 offset:198
	ds_load_u16 v33, v15 offset:990
	ds_load_u16 v36, v15 offset:396
	ds_load_u16 v37, v15 offset:1584
	v_add3_u32 v2, 0, v2, v7
	global_wb scope:SCOPE_SE
	s_wait_loadcnt_dscnt 0x0
	s_barrier_signal -1
	s_barrier_wait -1
	global_inv scope:SCOPE_SE
	v_lshrrev_b32_e32 v38, 16, v16
	v_lshrrev_b32_e32 v39, 16, v17
	s_delay_alu instid0(VALU_DEP_2) | instskip(NEXT) | instid1(VALU_DEP_2)
	v_mul_f16_e32 v7, v20, v38
	v_mul_f16_e32 v42, v34, v39
	;; [unrolled: 1-line block ×8, first 2 shown]
	v_fma_f16 v7, v35, v16, -v7
	v_fmac_f16_e32 v42, v24, v17
	v_fma_f16 v24, v32, v16, -v43
	v_fmac_f16_e32 v40, v20, v16
	;; [unrolled: 2-line block ×4, first 2 shown]
	v_add_f16_e32 v17, v21, v7
	v_add_f16_e32 v34, v22, v24
	v_lshrrev_b32_e32 v43, 16, v18
	v_lshrrev_b32_e32 v44, 16, v19
	v_add_f16_e32 v25, v7, v20
	v_add_f16_e32 v32, v40, v42
	v_sub_f16_e32 v7, v7, v20
	v_add_f16_e32 v35, v24, v16
	v_sub_f16_e32 v24, v24, v16
	v_add_f16_e32 v17, v17, v20
	v_add_f16_e32 v16, v34, v16
	v_mul_f16_e32 v20, v33, v43
	v_mul_f16_e32 v34, v37, v44
	v_sub_f16_e32 v28, v40, v42
	v_add_f16_e32 v31, v29, v40
	v_sub_f16_e32 v40, v38, v39
	v_add_f16_e32 v41, v30, v38
	v_add_f16_e32 v38, v38, v39
	v_fmac_f16_e32 v29, -0.5, v32
	v_fmac_f16_e32 v22, -0.5, v35
	v_mul_f16_e32 v32, v26, v43
	v_mul_f16_e32 v35, v27, v44
	v_fma_f16 v20, v26, v18, -v20
	v_fma_f16 v26, v27, v19, -v34
	v_fmac_f16_e32 v30, -0.5, v38
	v_fmac_f16_e32 v32, v33, v18
	v_fmac_f16_e32 v35, v37, v19
	v_fmac_f16_e32 v21, -0.5, v25
	v_add_f16_e32 v18, v20, v26
	v_fmamk_f16 v27, v24, 0xbaee, v30
	v_fmac_f16_e32 v30, 0x3aee, v24
	v_add_f16_e32 v19, v23, v20
	v_sub_f16_e32 v24, v32, v35
	v_fmac_f16_e32 v23, -0.5, v18
	v_fmamk_f16 v38, v28, 0x3aee, v21
	v_fmac_f16_e32 v21, 0xbaee, v28
	v_fmamk_f16 v28, v7, 0xbaee, v29
	v_fmac_f16_e32 v29, 0x3aee, v7
	;; [unrolled: 2-line block ×3, first 2 shown]
	v_add_f16_e32 v18, v19, v26
	v_fmamk_f16 v19, v24, 0x3aee, v23
	v_fmac_f16_e32 v23, 0xbaee, v24
	v_sub_f16_e32 v34, v20, v26
	ds_store_b16 v15, v17
	ds_store_b16 v15, v38 offset:198
	ds_store_b16 v15, v21 offset:396
	;; [unrolled: 1-line block ×8, first 2 shown]
	global_wb scope:SCOPE_SE
	s_wait_dscnt 0x0
	s_barrier_signal -1
	s_barrier_wait -1
	global_inv scope:SCOPE_SE
	ds_load_u16 v7, v8
	ds_load_u16 v16, v15 offset:198
	ds_load_u16 v19, v15 offset:792
	;; [unrolled: 1-line block ×8, first 2 shown]
	v_add_f16_e32 v33, v36, v32
	v_add_f16_e32 v32, v32, v35
	;; [unrolled: 1-line block ×4, first 2 shown]
	global_wb scope:SCOPE_SE
	s_wait_dscnt 0x0
	v_add_f16_e32 v26, v33, v35
	v_fmac_f16_e32 v36, -0.5, v32
	s_barrier_signal -1
	s_barrier_wait -1
	global_inv scope:SCOPE_SE
	v_fmamk_f16 v24, v34, 0xbaee, v36
	v_fmac_f16_e32 v36, 0x3aee, v34
	ds_store_b16 v15, v25
	ds_store_b16 v15, v28 offset:198
	ds_store_b16 v15, v29 offset:396
	;; [unrolled: 1-line block ×8, first 2 shown]
	global_wb scope:SCOPE_SE
	s_wait_dscnt 0x0
	s_barrier_signal -1
	s_barrier_wait -1
	global_inv scope:SCOPE_SE
	s_and_saveexec_b32 s0, vcc_lo
	s_cbranch_execz .LBB0_21
; %bb.20:
	v_mad_co_u64_u32 v[28:29], null, s8, v13, 0
	v_lshlrev_b32_e32 v2, 1, v10
	v_mad_co_u64_u32 v[32:33], null, s8, v9, 0
	v_mad_co_u64_u32 v[26:27], null, s8, v6, 0
	s_delay_alu instid0(VALU_DEP_3) | instskip(SKIP_4) | instid1(VALU_DEP_4)
	v_lshlrev_b64_e32 v[24:25], 2, v[2:3]
	v_lshlrev_b32_e32 v2, 1, v9
	v_mad_co_u64_u32 v[30:31], null, s8, v14, 0
	v_mul_hi_u32 v38, 0xdca8f159, v10
	v_mad_co_u64_u32 v[34:35], null, s8, v11, 0
	v_lshlrev_b64_e32 v[2:3], 2, v[2:3]
	v_add_co_u32 v24, vcc_lo, s4, v24
	s_wait_alu 0xfffd
	v_add_co_ci_u32_e32 v25, vcc_lo, s5, v25, vcc_lo
	v_mad_co_u64_u32 v[36:37], null, s8, v12, 0
	s_delay_alu instid0(VALU_DEP_4)
	v_add_co_u32 v2, vcc_lo, s4, v2
	s_wait_alu 0xfffd
	v_add_co_ci_u32_e32 v3, vcc_lo, s5, v3, vcc_lo
	s_clause 0x2
	global_load_b64 v[24:25], v[24:25], off offset:1152
	global_load_b64 v[2:3], v[2:3], off offset:1152
	;; [unrolled: 1-line block ×3, first 2 shown]
	v_add_co_u32 v48, vcc_lo, s10, v0
	ds_load_u16 v39, v15 offset:1584
	ds_load_u16 v40, v15 offset:1386
	;; [unrolled: 1-line block ×8, first 2 shown]
	ds_load_u16 v47, v8
	v_mov_b32_e32 v15, v33
	s_wait_alu 0xfffd
	v_add_co_ci_u32_e32 v49, vcc_lo, s11, v1, vcc_lo
	v_dual_mov_b32 v0, v27 :: v_dual_mov_b32 v27, v35
	v_dual_mov_b32 v1, v29 :: v_dual_mov_b32 v8, v31
	v_mov_b32_e32 v29, v37
	v_lshrrev_b32_e32 v31, 8, v38
	s_delay_alu instid0(VALU_DEP_3)
	v_mad_co_u64_u32 v[37:38], null, s9, v6, v[0:1]
	s_wait_loadcnt 0x1
	v_mad_co_u64_u32 v[0:1], null, s9, v13, v[1:2]
	v_mad_co_u64_u32 v[13:14], null, s9, v14, v[8:9]
	;; [unrolled: 1-line block ×3, first 2 shown]
	v_mad_u32_u24 v15, 0x252, v31, v10
	v_mad_co_u64_u32 v[9:10], null, s9, v11, v[27:28]
	v_mad_co_u64_u32 v[10:11], null, s9, v12, v[29:30]
	s_delay_alu instid0(VALU_DEP_3) | instskip(SKIP_4) | instid1(VALU_DEP_4)
	v_mad_co_u64_u32 v[11:12], null, s8, v15, 0
	v_dual_mov_b32 v29, v0 :: v_dual_add_nc_u32 v50, 0x252, v15
	v_dual_mov_b32 v27, v37 :: v_dual_add_nc_u32 v38, 0x129, v15
	v_mov_b32_e32 v33, v8
	v_mov_b32_e32 v35, v9
	v_mad_co_u64_u32 v[8:9], null, s8, v50, 0
	v_dual_mov_b32 v31, v13 :: v_dual_mov_b32 v6, v12
	v_mov_b32_e32 v37, v10
	v_mad_co_u64_u32 v[0:1], null, s8, v38, 0
	v_lshlrev_b64_e32 v[13:14], 2, v[26:27]
	v_lshlrev_b64_e32 v[26:27], 2, v[28:29]
	;; [unrolled: 1-line block ×6, first 2 shown]
	v_mad_co_u64_u32 v[36:37], null, s9, v15, v[6:7]
	v_mov_b32_e32 v6, v9
	v_add_co_u32 v13, vcc_lo, v48, v13
	s_wait_alu 0xfffd
	v_add_co_ci_u32_e32 v14, vcc_lo, v49, v14, vcc_lo
	v_mad_co_u64_u32 v[9:10], null, s9, v38, v[1:2]
	v_add_co_u32 v26, vcc_lo, v48, v26
	s_wait_alu 0xfffd
	v_add_co_ci_u32_e32 v27, vcc_lo, v49, v27, vcc_lo
	v_mad_co_u64_u32 v[37:38], null, s9, v50, v[6:7]
	v_add_co_u32 v28, vcc_lo, v48, v28
	v_mov_b32_e32 v12, v36
	s_wait_alu 0xfffd
	v_add_co_ci_u32_e32 v29, vcc_lo, v49, v29, vcc_lo
	v_add_co_u32 v30, vcc_lo, v48, v30
	v_mov_b32_e32 v1, v9
	s_wait_alu 0xfffd
	v_add_co_ci_u32_e32 v31, vcc_lo, v49, v31, vcc_lo
	v_add_co_u32 v32, vcc_lo, v48, v32
	v_lshlrev_b64_e32 v[10:11], 2, v[11:12]
	v_mov_b32_e32 v9, v37
	s_wait_alu 0xfffd
	v_add_co_ci_u32_e32 v33, vcc_lo, v49, v33, vcc_lo
	v_add_co_u32 v34, vcc_lo, v48, v34
	v_lshlrev_b64_e32 v[0:1], 2, v[0:1]
	s_wait_alu 0xfffd
	v_add_co_ci_u32_e32 v35, vcc_lo, v49, v35, vcc_lo
	v_lshlrev_b64_e32 v[8:9], 2, v[8:9]
	v_add_co_u32 v10, vcc_lo, v48, v10
	s_wait_alu 0xfffd
	v_add_co_ci_u32_e32 v11, vcc_lo, v49, v11, vcc_lo
	v_add_co_u32 v0, vcc_lo, v48, v0
	v_lshrrev_b32_e32 v6, 16, v24
	v_lshrrev_b32_e32 v12, 16, v25
	s_wait_alu 0xfffd
	v_add_co_ci_u32_e32 v1, vcc_lo, v49, v1, vcc_lo
	v_add_co_u32 v8, vcc_lo, v48, v8
	s_wait_alu 0xfffd
	v_add_co_ci_u32_e32 v9, vcc_lo, v49, v9, vcc_lo
	s_wait_dscnt 0x5
	v_mul_f16_e32 v15, v42, v6
	v_mul_f16_e32 v36, v39, v12
	;; [unrolled: 1-line block ×4, first 2 shown]
	v_lshrrev_b32_e32 v37, 16, v2
	v_lshrrev_b32_e32 v38, 16, v3
	s_wait_loadcnt 0x0
	v_lshrrev_b32_e32 v48, 16, v4
	v_lshrrev_b32_e32 v49, 16, v5
	v_fma_f16 v15, v22, v24, -v15
	v_fma_f16 v22, v23, v25, -v36
	v_fmac_f16_e32 v6, v24, v42
	v_fmac_f16_e32 v12, v25, v39
	s_wait_dscnt 0x4
	v_mul_f16_e32 v23, v43, v37
	v_mul_f16_e32 v24, v40, v38
	v_mul_f16_e32 v25, v19, v37
	v_mul_f16_e32 v36, v20, v38
	s_wait_dscnt 0x3
	v_mul_f16_e32 v37, v44, v48
	v_mul_f16_e32 v38, v41, v49
	;; [unrolled: 1-line block ×4, first 2 shown]
	v_sub_f16_e32 v48, v15, v22
	v_add_f16_e32 v49, v6, v12
	v_add_f16_e32 v50, v15, v22
	v_sub_f16_e32 v51, v6, v12
	s_wait_dscnt 0x2
	v_add_f16_e32 v6, v6, v45
	v_add_f16_e32 v15, v18, v15
	v_fma_f16 v19, v19, v2, -v23
	v_fma_f16 v20, v20, v3, -v24
	v_fmac_f16_e32 v25, v2, v43
	v_fmac_f16_e32 v36, v3, v40
	v_fma_f16 v2, v21, v4, -v37
	v_fma_f16 v3, v17, v5, -v38
	v_fmac_f16_e32 v39, v4, v44
	v_fmac_f16_e32 v42, v5, v41
	v_fma_f16 v5, -0.5, v50, v18
	v_add_f16_e32 v6, v12, v6
	v_add_f16_e32 v12, v15, v22
	v_sub_f16_e32 v15, v19, v20
	v_add_f16_e32 v17, v25, v36
	v_add_f16_e32 v18, v19, v20
	v_sub_f16_e32 v21, v25, v36
	s_wait_dscnt 0x1
	v_add_f16_e32 v22, v25, v46
	v_add_f16_e32 v19, v16, v19
	;; [unrolled: 1-line block ×4, first 2 shown]
	v_sub_f16_e32 v23, v2, v3
	s_wait_dscnt 0x0
	v_add_f16_e32 v38, v39, v47
	v_add_f16_e32 v2, v7, v2
	v_sub_f16_e32 v37, v39, v42
	v_fma_f16 v17, -0.5, v17, v46
	v_fma_f16 v16, -0.5, v18, v16
	v_add_f16_e32 v19, v19, v20
	v_fma_f16 v20, -0.5, v24, v47
	v_fma_f16 v7, -0.5, v25, v7
	v_add_f16_e32 v18, v36, v22
	v_add_f16_e32 v22, v42, v38
	v_add_f16_e32 v2, v2, v3
	v_fma_f16 v4, -0.5, v49, v45
	v_pack_b32_f16 v3, v12, v6
	v_fmamk_f16 v6, v15, 0x3aee, v17
	v_fmamk_f16 v12, v21, 0xbaee, v16
	v_fmac_f16_e32 v17, 0xbaee, v15
	v_fmac_f16_e32 v16, 0x3aee, v21
	v_fmamk_f16 v15, v23, 0x3aee, v20
	v_fmamk_f16 v21, v37, 0xbaee, v7
	v_fmac_f16_e32 v20, 0xbaee, v23
	v_fmac_f16_e32 v7, 0x3aee, v37
	v_pack_b32_f16 v2, v2, v22
	v_fmamk_f16 v39, v48, 0x3aee, v4
	v_fmamk_f16 v40, v51, 0xbaee, v5
	v_fmac_f16_e32 v4, 0xbaee, v48
	v_fmac_f16_e32 v5, 0x3aee, v51
	v_pack_b32_f16 v7, v7, v20
	v_pack_b32_f16 v15, v21, v15
	;; [unrolled: 1-line block ×3, first 2 shown]
	global_store_b32 v[13:14], v2, off
	v_pack_b32_f16 v2, v16, v17
	v_pack_b32_f16 v6, v12, v6
	v_pack_b32_f16 v4, v5, v4
	v_pack_b32_f16 v5, v40, v39
	s_clause 0x7
	global_store_b32 v[26:27], v7, off
	global_store_b32 v[28:29], v15, off
	;; [unrolled: 1-line block ×8, first 2 shown]
.LBB0_21:
	s_nop 0
	s_sendmsg sendmsg(MSG_DEALLOC_VGPRS)
	s_endpgm
	.section	.rodata,"a",@progbits
	.p2align	6, 0x0
	.amdhsa_kernel fft_rtc_fwd_len891_factors_9_11_3_3_wgs_198_tpt_99_halfLds_half_ip_CI_sbrr_dirReg
		.amdhsa_group_segment_fixed_size 0
		.amdhsa_private_segment_fixed_size 0
		.amdhsa_kernarg_size 88
		.amdhsa_user_sgpr_count 2
		.amdhsa_user_sgpr_dispatch_ptr 0
		.amdhsa_user_sgpr_queue_ptr 0
		.amdhsa_user_sgpr_kernarg_segment_ptr 1
		.amdhsa_user_sgpr_dispatch_id 0
		.amdhsa_user_sgpr_private_segment_size 0
		.amdhsa_wavefront_size32 1
		.amdhsa_uses_dynamic_stack 0
		.amdhsa_enable_private_segment 0
		.amdhsa_system_sgpr_workgroup_id_x 1
		.amdhsa_system_sgpr_workgroup_id_y 0
		.amdhsa_system_sgpr_workgroup_id_z 0
		.amdhsa_system_sgpr_workgroup_info 0
		.amdhsa_system_vgpr_workitem_id 0
		.amdhsa_next_free_vgpr 67
		.amdhsa_next_free_sgpr 35
		.amdhsa_reserve_vcc 1
		.amdhsa_float_round_mode_32 0
		.amdhsa_float_round_mode_16_64 0
		.amdhsa_float_denorm_mode_32 3
		.amdhsa_float_denorm_mode_16_64 3
		.amdhsa_fp16_overflow 0
		.amdhsa_workgroup_processor_mode 1
		.amdhsa_memory_ordered 1
		.amdhsa_forward_progress 0
		.amdhsa_round_robin_scheduling 0
		.amdhsa_exception_fp_ieee_invalid_op 0
		.amdhsa_exception_fp_denorm_src 0
		.amdhsa_exception_fp_ieee_div_zero 0
		.amdhsa_exception_fp_ieee_overflow 0
		.amdhsa_exception_fp_ieee_underflow 0
		.amdhsa_exception_fp_ieee_inexact 0
		.amdhsa_exception_int_div_zero 0
	.end_amdhsa_kernel
	.text
.Lfunc_end0:
	.size	fft_rtc_fwd_len891_factors_9_11_3_3_wgs_198_tpt_99_halfLds_half_ip_CI_sbrr_dirReg, .Lfunc_end0-fft_rtc_fwd_len891_factors_9_11_3_3_wgs_198_tpt_99_halfLds_half_ip_CI_sbrr_dirReg
                                        ; -- End function
	.section	.AMDGPU.csdata,"",@progbits
; Kernel info:
; codeLenInByte = 8156
; NumSgprs: 37
; NumVgprs: 67
; ScratchSize: 0
; MemoryBound: 0
; FloatMode: 240
; IeeeMode: 1
; LDSByteSize: 0 bytes/workgroup (compile time only)
; SGPRBlocks: 4
; VGPRBlocks: 8
; NumSGPRsForWavesPerEU: 37
; NumVGPRsForWavesPerEU: 67
; Occupancy: 16
; WaveLimiterHint : 1
; COMPUTE_PGM_RSRC2:SCRATCH_EN: 0
; COMPUTE_PGM_RSRC2:USER_SGPR: 2
; COMPUTE_PGM_RSRC2:TRAP_HANDLER: 0
; COMPUTE_PGM_RSRC2:TGID_X_EN: 1
; COMPUTE_PGM_RSRC2:TGID_Y_EN: 0
; COMPUTE_PGM_RSRC2:TGID_Z_EN: 0
; COMPUTE_PGM_RSRC2:TIDIG_COMP_CNT: 0
	.text
	.p2alignl 7, 3214868480
	.fill 96, 4, 3214868480
	.type	__hip_cuid_9d9e1803e399931e,@object ; @__hip_cuid_9d9e1803e399931e
	.section	.bss,"aw",@nobits
	.globl	__hip_cuid_9d9e1803e399931e
__hip_cuid_9d9e1803e399931e:
	.byte	0                               ; 0x0
	.size	__hip_cuid_9d9e1803e399931e, 1

	.ident	"AMD clang version 19.0.0git (https://github.com/RadeonOpenCompute/llvm-project roc-6.4.0 25133 c7fe45cf4b819c5991fe208aaa96edf142730f1d)"
	.section	".note.GNU-stack","",@progbits
	.addrsig
	.addrsig_sym __hip_cuid_9d9e1803e399931e
	.amdgpu_metadata
---
amdhsa.kernels:
  - .args:
      - .actual_access:  read_only
        .address_space:  global
        .offset:         0
        .size:           8
        .value_kind:     global_buffer
      - .offset:         8
        .size:           8
        .value_kind:     by_value
      - .actual_access:  read_only
        .address_space:  global
        .offset:         16
        .size:           8
        .value_kind:     global_buffer
      - .actual_access:  read_only
        .address_space:  global
        .offset:         24
        .size:           8
        .value_kind:     global_buffer
      - .offset:         32
        .size:           8
        .value_kind:     by_value
      - .actual_access:  read_only
        .address_space:  global
        .offset:         40
        .size:           8
        .value_kind:     global_buffer
      - .actual_access:  read_only
        .address_space:  global
        .offset:         48
        .size:           8
        .value_kind:     global_buffer
      - .offset:         56
        .size:           4
        .value_kind:     by_value
      - .actual_access:  read_only
        .address_space:  global
        .offset:         64
        .size:           8
        .value_kind:     global_buffer
      - .actual_access:  read_only
        .address_space:  global
        .offset:         72
        .size:           8
        .value_kind:     global_buffer
      - .address_space:  global
        .offset:         80
        .size:           8
        .value_kind:     global_buffer
    .group_segment_fixed_size: 0
    .kernarg_segment_align: 8
    .kernarg_segment_size: 88
    .language:       OpenCL C
    .language_version:
      - 2
      - 0
    .max_flat_workgroup_size: 198
    .name:           fft_rtc_fwd_len891_factors_9_11_3_3_wgs_198_tpt_99_halfLds_half_ip_CI_sbrr_dirReg
    .private_segment_fixed_size: 0
    .sgpr_count:     37
    .sgpr_spill_count: 0
    .symbol:         fft_rtc_fwd_len891_factors_9_11_3_3_wgs_198_tpt_99_halfLds_half_ip_CI_sbrr_dirReg.kd
    .uniform_work_group_size: 1
    .uses_dynamic_stack: false
    .vgpr_count:     67
    .vgpr_spill_count: 0
    .wavefront_size: 32
    .workgroup_processor_mode: 1
amdhsa.target:   amdgcn-amd-amdhsa--gfx1201
amdhsa.version:
  - 1
  - 2
...

	.end_amdgpu_metadata
